;; amdgpu-corpus repo=ROCm/rocFFT kind=compiled arch=gfx906 opt=O3
	.text
	.amdgcn_target "amdgcn-amd-amdhsa--gfx906"
	.amdhsa_code_object_version 6
	.protected	fft_rtc_back_len250_factors_10_5_5_wgs_125_tpt_25_halfLds_sp_op_CI_CI_unitstride_sbrr_R2C_dirReg ; -- Begin function fft_rtc_back_len250_factors_10_5_5_wgs_125_tpt_25_halfLds_sp_op_CI_CI_unitstride_sbrr_R2C_dirReg
	.globl	fft_rtc_back_len250_factors_10_5_5_wgs_125_tpt_25_halfLds_sp_op_CI_CI_unitstride_sbrr_R2C_dirReg
	.p2align	8
	.type	fft_rtc_back_len250_factors_10_5_5_wgs_125_tpt_25_halfLds_sp_op_CI_CI_unitstride_sbrr_R2C_dirReg,@function
fft_rtc_back_len250_factors_10_5_5_wgs_125_tpt_25_halfLds_sp_op_CI_CI_unitstride_sbrr_R2C_dirReg: ; @fft_rtc_back_len250_factors_10_5_5_wgs_125_tpt_25_halfLds_sp_op_CI_CI_unitstride_sbrr_R2C_dirReg
; %bb.0:
	v_mul_u32_u24_e32 v1, 0xa3e, v0
	s_load_dwordx4 s[8:11], s[4:5], 0x58
	s_load_dwordx4 s[12:15], s[4:5], 0x0
	;; [unrolled: 1-line block ×3, first 2 shown]
	v_lshrrev_b32_e32 v1, 16, v1
	v_mad_u64_u32 v[5:6], s[0:1], s6, 5, v[1:2]
	v_mov_b32_e32 v10, 0
	s_waitcnt lgkmcnt(0)
	v_cmp_lt_u64_e64 s[0:1], s[14:15], 2
	v_mov_b32_e32 v8, 0
	v_mov_b32_e32 v6, v10
	;; [unrolled: 1-line block ×5, first 2 shown]
	s_and_b64 vcc, exec, s[0:1]
	v_mov_b32_e32 v2, v9
	v_mov_b32_e32 v4, v6
	s_cbranch_vccnz .LBB0_8
; %bb.1:
	s_load_dwordx2 s[0:1], s[4:5], 0x10
	s_add_u32 s2, s18, 8
	s_addc_u32 s3, s19, 0
	s_add_u32 s6, s16, 8
	s_addc_u32 s7, s17, 0
	v_mov_b32_e32 v8, 0
	s_waitcnt lgkmcnt(0)
	s_add_u32 s20, s0, 8
	v_mov_b32_e32 v9, 0
	v_mov_b32_e32 v1, v8
	;; [unrolled: 1-line block ×3, first 2 shown]
	s_addc_u32 s21, s1, 0
	s_mov_b64 s[22:23], 1
	v_mov_b32_e32 v2, v9
	v_mov_b32_e32 v6, v5
.LBB0_2:                                ; =>This Inner Loop Header: Depth=1
	s_load_dwordx2 s[24:25], s[20:21], 0x0
                                        ; implicit-def: $vgpr3_vgpr4
	s_waitcnt lgkmcnt(0)
	v_or_b32_e32 v11, s25, v7
	v_cmp_ne_u64_e32 vcc, 0, v[10:11]
	s_and_saveexec_b64 s[0:1], vcc
	s_xor_b64 s[26:27], exec, s[0:1]
	s_cbranch_execz .LBB0_4
; %bb.3:                                ;   in Loop: Header=BB0_2 Depth=1
	v_cvt_f32_u32_e32 v3, s24
	v_cvt_f32_u32_e32 v4, s25
	s_sub_u32 s0, 0, s24
	s_subb_u32 s1, 0, s25
	v_mac_f32_e32 v3, 0x4f800000, v4
	v_rcp_f32_e32 v3, v3
	v_mul_f32_e32 v3, 0x5f7ffffc, v3
	v_mul_f32_e32 v4, 0x2f800000, v3
	v_trunc_f32_e32 v4, v4
	v_mac_f32_e32 v3, 0xcf800000, v4
	v_cvt_u32_f32_e32 v4, v4
	v_cvt_u32_f32_e32 v3, v3
	v_mul_lo_u32 v11, s0, v4
	v_mul_hi_u32 v12, s0, v3
	v_mul_lo_u32 v14, s1, v3
	v_mul_lo_u32 v13, s0, v3
	v_add_u32_e32 v11, v12, v11
	v_add_u32_e32 v11, v11, v14
	v_mul_hi_u32 v12, v3, v13
	v_mul_lo_u32 v14, v3, v11
	v_mul_hi_u32 v16, v3, v11
	v_mul_hi_u32 v15, v4, v13
	v_mul_lo_u32 v13, v4, v13
	v_mul_hi_u32 v17, v4, v11
	v_add_co_u32_e32 v12, vcc, v12, v14
	v_addc_co_u32_e32 v14, vcc, 0, v16, vcc
	v_mul_lo_u32 v11, v4, v11
	v_add_co_u32_e32 v12, vcc, v12, v13
	v_addc_co_u32_e32 v12, vcc, v14, v15, vcc
	v_addc_co_u32_e32 v13, vcc, 0, v17, vcc
	v_add_co_u32_e32 v11, vcc, v12, v11
	v_addc_co_u32_e32 v12, vcc, 0, v13, vcc
	v_add_co_u32_e32 v3, vcc, v3, v11
	v_addc_co_u32_e32 v4, vcc, v4, v12, vcc
	v_mul_lo_u32 v11, s0, v4
	v_mul_hi_u32 v12, s0, v3
	v_mul_lo_u32 v13, s1, v3
	v_mul_lo_u32 v14, s0, v3
	v_add_u32_e32 v11, v12, v11
	v_add_u32_e32 v11, v11, v13
	v_mul_lo_u32 v15, v3, v11
	v_mul_hi_u32 v16, v3, v14
	v_mul_hi_u32 v17, v3, v11
	;; [unrolled: 1-line block ×3, first 2 shown]
	v_mul_lo_u32 v14, v4, v14
	v_mul_hi_u32 v12, v4, v11
	v_add_co_u32_e32 v15, vcc, v16, v15
	v_addc_co_u32_e32 v16, vcc, 0, v17, vcc
	v_mul_lo_u32 v11, v4, v11
	v_add_co_u32_e32 v14, vcc, v15, v14
	v_addc_co_u32_e32 v13, vcc, v16, v13, vcc
	v_addc_co_u32_e32 v12, vcc, 0, v12, vcc
	v_add_co_u32_e32 v11, vcc, v13, v11
	v_addc_co_u32_e32 v12, vcc, 0, v12, vcc
	v_add_co_u32_e32 v11, vcc, v3, v11
	v_addc_co_u32_e32 v12, vcc, v4, v12, vcc
	v_mad_u64_u32 v[3:4], s[0:1], v6, v12, 0
	v_mul_hi_u32 v13, v6, v11
	v_add_co_u32_e32 v13, vcc, v13, v3
	v_addc_co_u32_e32 v14, vcc, 0, v4, vcc
	v_mad_u64_u32 v[3:4], s[0:1], v7, v11, 0
	v_mad_u64_u32 v[11:12], s[0:1], v7, v12, 0
	v_add_co_u32_e32 v3, vcc, v13, v3
	v_addc_co_u32_e32 v3, vcc, v14, v4, vcc
	v_addc_co_u32_e32 v4, vcc, 0, v12, vcc
	v_add_co_u32_e32 v11, vcc, v3, v11
	v_addc_co_u32_e32 v12, vcc, 0, v4, vcc
	v_mul_lo_u32 v13, s25, v11
	v_mul_lo_u32 v14, s24, v12
	v_mad_u64_u32 v[3:4], s[0:1], s24, v11, 0
	v_add3_u32 v4, v4, v14, v13
	v_sub_u32_e32 v13, v7, v4
	v_mov_b32_e32 v14, s25
	v_sub_co_u32_e32 v3, vcc, v6, v3
	v_subb_co_u32_e64 v13, s[0:1], v13, v14, vcc
	v_subrev_co_u32_e64 v14, s[0:1], s24, v3
	v_subbrev_co_u32_e64 v13, s[0:1], 0, v13, s[0:1]
	v_cmp_le_u32_e64 s[0:1], s25, v13
	v_cndmask_b32_e64 v15, 0, -1, s[0:1]
	v_cmp_le_u32_e64 s[0:1], s24, v14
	v_cndmask_b32_e64 v14, 0, -1, s[0:1]
	v_cmp_eq_u32_e64 s[0:1], s25, v13
	v_cndmask_b32_e64 v13, v15, v14, s[0:1]
	v_add_co_u32_e64 v14, s[0:1], 2, v11
	v_addc_co_u32_e64 v15, s[0:1], 0, v12, s[0:1]
	v_add_co_u32_e64 v16, s[0:1], 1, v11
	v_addc_co_u32_e64 v17, s[0:1], 0, v12, s[0:1]
	v_subb_co_u32_e32 v4, vcc, v7, v4, vcc
	v_cmp_ne_u32_e64 s[0:1], 0, v13
	v_cmp_le_u32_e32 vcc, s25, v4
	v_cndmask_b32_e64 v13, v17, v15, s[0:1]
	v_cndmask_b32_e64 v15, 0, -1, vcc
	v_cmp_le_u32_e32 vcc, s24, v3
	v_cndmask_b32_e64 v3, 0, -1, vcc
	v_cmp_eq_u32_e32 vcc, s25, v4
	v_cndmask_b32_e32 v3, v15, v3, vcc
	v_cmp_ne_u32_e32 vcc, 0, v3
	v_cndmask_b32_e64 v3, v16, v14, s[0:1]
	v_cndmask_b32_e32 v4, v12, v13, vcc
	v_cndmask_b32_e32 v3, v11, v3, vcc
.LBB0_4:                                ;   in Loop: Header=BB0_2 Depth=1
	s_andn2_saveexec_b64 s[0:1], s[26:27]
	s_cbranch_execz .LBB0_6
; %bb.5:                                ;   in Loop: Header=BB0_2 Depth=1
	v_cvt_f32_u32_e32 v3, s24
	s_sub_i32 s26, 0, s24
	v_rcp_iflag_f32_e32 v3, v3
	v_mul_f32_e32 v3, 0x4f7ffffe, v3
	v_cvt_u32_f32_e32 v3, v3
	v_mul_lo_u32 v4, s26, v3
	v_mul_hi_u32 v4, v3, v4
	v_add_u32_e32 v3, v3, v4
	v_mul_hi_u32 v3, v6, v3
	v_mul_lo_u32 v4, v3, s24
	v_add_u32_e32 v11, 1, v3
	v_sub_u32_e32 v4, v6, v4
	v_subrev_u32_e32 v12, s24, v4
	v_cmp_le_u32_e32 vcc, s24, v4
	v_cndmask_b32_e32 v4, v4, v12, vcc
	v_cndmask_b32_e32 v3, v3, v11, vcc
	v_add_u32_e32 v11, 1, v3
	v_cmp_le_u32_e32 vcc, s24, v4
	v_cndmask_b32_e32 v3, v3, v11, vcc
	v_mov_b32_e32 v4, v10
.LBB0_6:                                ;   in Loop: Header=BB0_2 Depth=1
	s_or_b64 exec, exec, s[0:1]
	v_mul_lo_u32 v13, v4, s24
	v_mul_lo_u32 v14, v3, s25
	v_mad_u64_u32 v[11:12], s[0:1], v3, s24, 0
	s_load_dwordx2 s[0:1], s[6:7], 0x0
	s_load_dwordx2 s[24:25], s[2:3], 0x0
	v_add3_u32 v12, v12, v14, v13
	v_sub_co_u32_e32 v6, vcc, v6, v11
	v_subb_co_u32_e32 v7, vcc, v7, v12, vcc
	s_waitcnt lgkmcnt(0)
	v_mul_lo_u32 v11, s0, v7
	v_mul_lo_u32 v12, s1, v6
	v_mad_u64_u32 v[8:9], s[0:1], s0, v6, v[8:9]
	v_mul_lo_u32 v7, s24, v7
	v_mul_lo_u32 v13, s25, v6
	v_mad_u64_u32 v[1:2], s[0:1], s24, v6, v[1:2]
	s_add_u32 s22, s22, 1
	s_addc_u32 s23, s23, 0
	s_add_u32 s2, s2, 8
	v_add3_u32 v2, v13, v2, v7
	s_addc_u32 s3, s3, 0
	v_mov_b32_e32 v6, s14
	s_add_u32 s6, s6, 8
	v_mov_b32_e32 v7, s15
	s_addc_u32 s7, s7, 0
	v_cmp_ge_u64_e32 vcc, s[22:23], v[6:7]
	s_add_u32 s20, s20, 8
	v_add3_u32 v9, v12, v9, v11
	s_addc_u32 s21, s21, 0
	s_cbranch_vccnz .LBB0_8
; %bb.7:                                ;   in Loop: Header=BB0_2 Depth=1
	v_mov_b32_e32 v7, v4
	v_mov_b32_e32 v6, v3
	s_branch .LBB0_2
.LBB0_8:
	s_mov_b32 s2, 0xcccccccd
	s_load_dwordx2 s[0:1], s[4:5], 0x28
	v_mul_hi_u32 v6, v5, s2
	s_lshl_b64 s[6:7], s[14:15], 3
	s_add_u32 s2, s18, s6
	s_addc_u32 s3, s19, s7
	v_lshrrev_b32_e32 v6, 2, v6
	v_lshl_add_u32 v6, v6, 2, v6
	s_waitcnt lgkmcnt(0)
	v_cmp_gt_u64_e32 vcc, s[0:1], v[3:4]
	v_cmp_le_u64_e64 s[0:1], s[0:1], v[3:4]
	v_sub_u32_e32 v6, v5, v6
                                        ; implicit-def: $vgpr5
                                        ; implicit-def: $vgpr7
	s_and_saveexec_b64 s[4:5], s[0:1]
	s_xor_b64 s[0:1], exec, s[4:5]
; %bb.9:
	s_mov_b32 s4, 0xa3d70a4
	v_mul_hi_u32 v5, v0, s4
                                        ; implicit-def: $vgpr8_vgpr9
	v_mul_u32_u24_e32 v5, 25, v5
	v_sub_u32_e32 v5, v0, v5
	v_add_u32_e32 v7, 25, v5
                                        ; implicit-def: $vgpr0
; %bb.10:
	s_or_saveexec_b64 s[4:5], s[0:1]
	v_mul_u32_u24_e32 v6, 0xfb, v6
	v_lshlrev_b32_e32 v11, 3, v6
	s_xor_b64 exec, exec, s[4:5]
	s_cbranch_execz .LBB0_12
; %bb.11:
	s_add_u32 s0, s16, s6
	s_addc_u32 s1, s17, s7
	s_load_dwordx2 s[0:1], s[0:1], 0x0
	s_mov_b32 s6, 0xa3d70a4
	v_mul_hi_u32 v5, v0, s6
	s_waitcnt lgkmcnt(0)
	v_mul_lo_u32 v10, s1, v3
	v_mul_lo_u32 v12, s0, v4
	v_mad_u64_u32 v[6:7], s[0:1], s0, v3, 0
	v_mul_u32_u24_e32 v5, 25, v5
	v_sub_u32_e32 v5, v0, v5
	v_add3_u32 v7, v7, v12, v10
	v_lshlrev_b64 v[6:7], 3, v[6:7]
	v_mov_b32_e32 v0, s9
	v_add_co_u32_e64 v10, s[0:1], s8, v6
	v_addc_co_u32_e64 v0, s[0:1], v0, v7, s[0:1]
	v_lshlrev_b64 v[6:7], 3, v[8:9]
	v_add_co_u32_e64 v6, s[0:1], v10, v6
	v_addc_co_u32_e64 v0, s[0:1], v0, v7, s[0:1]
	v_lshlrev_b32_e32 v10, 3, v5
	v_add_co_u32_e64 v6, s[0:1], v6, v10
	v_addc_co_u32_e64 v7, s[0:1], 0, v0, s[0:1]
	global_load_dwordx2 v[8:9], v[6:7], off
	global_load_dwordx2 v[12:13], v[6:7], off offset:200
	global_load_dwordx2 v[14:15], v[6:7], off offset:400
	;; [unrolled: 1-line block ×9, first 2 shown]
	v_add_u32_e32 v7, 25, v5
	v_add3_u32 v0, 0, v11, v10
	s_waitcnt vmcnt(8)
	ds_write2_b64 v0, v[8:9], v[12:13] offset1:25
	s_waitcnt vmcnt(6)
	ds_write2_b64 v0, v[14:15], v[16:17] offset0:50 offset1:75
	s_waitcnt vmcnt(4)
	ds_write2_b64 v0, v[18:19], v[20:21] offset0:100 offset1:125
	;; [unrolled: 2-line block ×4, first 2 shown]
.LBB0_12:
	s_or_b64 exec, exec, s[4:5]
	v_lshlrev_b32_e32 v6, 3, v5
	v_add3_u32 v10, 0, v6, v11
	s_load_dwordx2 s[2:3], s[2:3], 0x0
	s_waitcnt lgkmcnt(0)
	s_barrier
	ds_read2_b64 v[12:15], v10 offset0:125 offset1:150
	ds_read2_b64 v[17:20], v10 offset0:175 offset1:200
	;; [unrolled: 1-line block ×4, first 2 shown]
	ds_read_b64 v[8:9], v10 offset:1800
	s_movk_i32 s0, 0x48
	s_waitcnt lgkmcnt(3)
	v_add_f32_e32 v0, v12, v17
	s_waitcnt lgkmcnt(2)
	v_fma_f32 v31, -0.5, v0, v21
	v_add_u32_e32 v0, 0, v11
	v_add_u32_e32 v16, v0, v6
	ds_read_b64 v[29:30], v16
	s_waitcnt lgkmcnt(1)
	v_add_f32_e32 v32, v25, v8
	v_add_f32_e32 v33, v13, v18
	;; [unrolled: 1-line block ×3, first 2 shown]
	v_fma_f32 v32, -0.5, v32, v21
	v_fma_f32 v33, -0.5, v33, v22
	;; [unrolled: 1-line block ×3, first 2 shown]
	s_waitcnt lgkmcnt(0)
	v_add_f32_e32 v35, v29, v23
	v_add_f32_e32 v40, v30, v24
	v_add_f32_e32 v21, v21, v25
	v_add_f32_e32 v22, v22, v26
	v_add_f32_e32 v35, v35, v27
	v_add_f32_e32 v40, v40, v28
	v_add_f32_e32 v21, v21, v12
	v_add_f32_e32 v22, v22, v13
	v_sub_f32_e32 v45, v26, v9
	v_sub_f32_e32 v46, v25, v12
	;; [unrolled: 1-line block ×5, first 2 shown]
	v_add_f32_e32 v35, v35, v14
	v_add_f32_e32 v40, v40, v15
	v_sub_f32_e32 v51, v13, v18
	v_sub_f32_e32 v52, v12, v17
	v_add_f32_e32 v12, v21, v17
	v_add_f32_e32 v13, v22, v18
	v_sub_f32_e32 v36, v24, v20
	v_sub_f32_e32 v37, v23, v27
	v_add_f32_e32 v38, v23, v19
	v_sub_f32_e32 v39, v27, v23
	v_sub_f32_e32 v23, v23, v19
	v_sub_f32_e32 v41, v24, v28
	v_add_f32_e32 v42, v24, v20
	v_sub_f32_e32 v24, v28, v24
	v_add_f32_e32 v43, v27, v14
	v_sub_f32_e32 v44, v28, v15
	;; [unrolled: 2-line block ×3, first 2 shown]
	v_sub_f32_e32 v25, v25, v8
	v_sub_f32_e32 v49, v19, v14
	;; [unrolled: 1-line block ×5, first 2 shown]
	v_add_f32_e32 v19, v35, v19
	v_add_f32_e32 v20, v40, v20
	v_sub_f32_e32 v21, v8, v17
	v_sub_f32_e32 v17, v17, v8
	;; [unrolled: 1-line block ×4, first 2 shown]
	v_add_f32_e32 v35, v12, v8
	v_add_f32_e32 v40, v13, v9
	v_mov_b32_e32 v8, v31
	v_mov_b32_e32 v9, v33
	v_fmac_f32_e32 v8, 0xbf737871, v45
	v_fmac_f32_e32 v9, 0x3f737871, v25
	v_fma_f32 v43, -0.5, v43, v29
	v_fma_f32 v28, -0.5, v28, v30
	v_add_f32_e32 v37, v37, v49
	v_add_f32_e32 v41, v41, v50
	;; [unrolled: 1-line block ×4, first 2 shown]
	v_fmac_f32_e32 v8, 0xbf167918, v51
	v_fmac_f32_e32 v9, 0x3f167918, v52
	v_mov_b32_e32 v49, v43
	v_mov_b32_e32 v50, v28
	v_fmac_f32_e32 v8, 0x3e9e377a, v21
	v_fmac_f32_e32 v9, 0x3e9e377a, v22
	;; [unrolled: 1-line block ×4, first 2 shown]
	v_mul_f32_e32 v46, 0xbf167918, v9
	v_mul_f32_e32 v48, 0x3f167918, v8
	v_fmac_f32_e32 v49, 0xbf167918, v44
	v_fmac_f32_e32 v50, 0x3f167918, v27
	v_fmac_f32_e32 v30, -0.5, v42
	v_mov_b32_e32 v42, v34
	v_fmac_f32_e32 v34, 0x3f737871, v52
	v_fmac_f32_e32 v46, 0x3f4f1bbd, v8
	;; [unrolled: 1-line block ×5, first 2 shown]
	v_add_f32_e32 v18, v26, v18
	v_mov_b32_e32 v26, v32
	v_fmac_f32_e32 v32, 0xbf737871, v51
	v_fmac_f32_e32 v34, 0xbf167918, v25
	v_add_f32_e32 v8, v19, v35
	v_add_f32_e32 v9, v20, v40
	;; [unrolled: 1-line block ×4, first 2 shown]
	v_mad_u32_u24 v53, v5, s0, v10
	v_add_f32_e32 v39, v39, v14
	v_add_f32_e32 v17, v47, v17
	v_fmac_f32_e32 v32, 0x3f167918, v45
	v_fmac_f32_e32 v34, 0x3e9e377a, v18
	v_fma_f32 v14, -0.5, v38, v29
	v_mov_b32_e32 v29, v30
	v_fmac_f32_e32 v30, 0x3f737871, v27
	s_barrier
	ds_write2_b64 v53, v[8:9], v[12:13] offset1:1
	v_add_f32_e32 v24, v24, v15
	v_fmac_f32_e32 v32, 0x3e9e377a, v17
	v_mul_f32_e32 v8, 0xbe9e377a, v34
	v_fmac_f32_e32 v30, 0xbf167918, v23
	v_fmac_f32_e32 v8, 0x3f737871, v32
	;; [unrolled: 1-line block ×4, first 2 shown]
	v_add_f32_e32 v9, v30, v8
	v_sub_f32_e32 v13, v30, v8
	v_mov_b32_e32 v30, v14
	v_fmac_f32_e32 v31, 0x3f737871, v45
	v_fmac_f32_e32 v26, 0x3f737871, v51
	;; [unrolled: 1-line block ×11, first 2 shown]
	v_mul_f32_e32 v12, 0xbf737871, v34
	v_fmac_f32_e32 v14, 0x3f167918, v36
	v_fmac_f32_e32 v43, 0x3f737871, v36
	v_fmac_f32_e32 v30, 0xbf167918, v36
	v_fmac_f32_e32 v28, 0xbf737871, v23
	v_fmac_f32_e32 v29, 0x3f167918, v23
	v_fmac_f32_e32 v31, 0x3e9e377a, v21
	v_fmac_f32_e32 v26, 0x3e9e377a, v17
	v_fmac_f32_e32 v33, 0x3e9e377a, v22
	v_mul_f32_e32 v21, 0xbf737871, v42
	v_mul_f32_e32 v22, 0x3e9e377a, v42
	v_fmac_f32_e32 v12, 0xbe9e377a, v32
	v_fmac_f32_e32 v14, 0x3e9e377a, v39
	;; [unrolled: 1-line block ×8, first 2 shown]
	v_mul_f32_e32 v25, 0xbf167918, v33
	v_mul_f32_e32 v26, 0xbf4f1bbd, v33
	v_add_f32_e32 v8, v14, v12
	v_sub_f32_e32 v12, v14, v12
	v_sub_f32_e32 v14, v19, v35
	;; [unrolled: 1-line block ×3, first 2 shown]
	v_fmac_f32_e32 v43, 0x3e9e377a, v37
	v_fmac_f32_e32 v28, 0x3e9e377a, v41
	;; [unrolled: 1-line block ×4, first 2 shown]
	v_add_f32_e32 v19, v30, v21
	v_add_f32_e32 v20, v29, v22
	s_movk_i32 s0, 0xcd
	v_sub_f32_e32 v17, v49, v46
	v_sub_f32_e32 v18, v50, v48
	;; [unrolled: 1-line block ×4, first 2 shown]
	v_add_f32_e32 v23, v43, v25
	v_add_f32_e32 v24, v28, v26
	v_sub_f32_e32 v25, v43, v25
	v_sub_f32_e32 v26, v28, v26
	ds_write2_b64 v53, v[19:20], v[8:9] offset0:2 offset1:3
	ds_write2_b64 v53, v[23:24], v[14:15] offset0:4 offset1:5
	ds_write2_b64 v53, v[17:18], v[21:22] offset0:6 offset1:7
	ds_write2_b64 v53, v[12:13], v[25:26] offset0:8 offset1:9
	v_mul_lo_u16_sdwa v8, v5, s0 dst_sel:DWORD dst_unused:UNUSED_PAD src0_sel:BYTE_0 src1_sel:DWORD
	v_lshrrev_b16_e32 v37, 11, v8
	v_mul_lo_u16_e32 v8, 10, v37
	v_sub_u16_e32 v38, v5, v8
	v_mov_b32_e32 v8, 5
	v_lshlrev_b32_sdwa v9, v8, v38 dst_sel:DWORD dst_unused:UNUSED_PAD src0_sel:DWORD src1_sel:BYTE_0
	v_mul_lo_u16_sdwa v17, v7, s0 dst_sel:DWORD dst_unused:UNUSED_PAD src0_sel:BYTE_0 src1_sel:DWORD
	s_waitcnt lgkmcnt(0)
	s_barrier
	global_load_dwordx4 v[12:15], v9, s[12:13] offset:16
	v_lshrrev_b16_e32 v39, 11, v17
	v_mul_lo_u16_e32 v17, 10, v39
	v_sub_u16_e32 v40, v7, v17
	v_lshlrev_b32_sdwa v8, v8, v40 dst_sel:DWORD dst_unused:UNUSED_PAD src0_sel:DWORD src1_sel:BYTE_0
	global_load_dwordx4 v[17:20], v8, s[12:13] offset:16
	global_load_dwordx4 v[21:24], v9, s[12:13]
	global_load_dwordx4 v[25:28], v8, s[12:13]
	ds_read2_b64 v[29:32], v10 offset0:150 offset1:175
	ds_read2_b64 v[33:36], v10 offset0:200 offset1:225
	s_movk_i32 s0, 0x190
	s_waitcnt vmcnt(3) lgkmcnt(1)
	v_mul_f32_e32 v41, v13, v30
	v_mul_f32_e32 v8, v13, v29
	v_fmac_f32_e32 v41, v12, v29
	v_fma_f32 v29, v12, v30, -v8
	s_waitcnt lgkmcnt(0)
	v_mul_f32_e32 v30, v15, v34
	v_mul_f32_e32 v8, v15, v33
	v_fmac_f32_e32 v30, v14, v33
	v_fma_f32 v33, v14, v34, -v8
	s_waitcnt vmcnt(2)
	v_mul_f32_e32 v34, v32, v18
	v_mul_f32_e32 v8, v31, v18
	v_fmac_f32_e32 v34, v31, v17
	v_fma_f32 v31, v32, v17, -v8
	ds_read_b64 v[8:9], v10 offset:400
	v_mul_f32_e32 v32, v36, v20
	v_mul_f32_e32 v12, v35, v20
	v_fmac_f32_e32 v32, v35, v19
	v_fma_f32 v35, v36, v19, -v12
	ds_read2_b64 v[12:15], v10 offset0:100 offset1:125
	ds_read2_b32 v[17:18], v10 offset0:150 offset1:151
	ds_read_b64 v[19:20], v16
	s_waitcnt vmcnt(1) lgkmcnt(3)
	v_mul_f32_e32 v36, v22, v9
	v_fmac_f32_e32 v36, v21, v8
	v_mul_f32_e32 v8, v22, v8
	v_fma_f32 v42, v21, v9, -v8
	s_waitcnt lgkmcnt(2)
	v_mul_f32_e32 v43, v24, v13
	v_mul_f32_e32 v8, v24, v12
	v_fmac_f32_e32 v43, v23, v12
	v_fma_f32 v23, v23, v13, -v8
	s_waitcnt vmcnt(0)
	v_mul_f32_e32 v44, v15, v28
	v_mul_f32_e32 v8, v14, v28
	v_fmac_f32_e32 v44, v14, v27
	v_fma_f32 v27, v15, v27, -v8
	s_waitcnt lgkmcnt(1)
	v_mul_f32_e32 v28, v18, v26
	v_mul_f32_e32 v8, v26, v17
	v_add_f32_e32 v12, v43, v41
	v_add_f32_e32 v13, v23, v29
	v_sub_f32_e32 v14, v42, v23
	v_sub_f32_e32 v15, v33, v29
	v_mov_b32_e32 v26, 3
	v_fmac_f32_e32 v28, v25, v17
	v_fma_f32 v25, v18, v25, -v8
	v_sub_f32_e32 v8, v36, v43
	v_sub_f32_e32 v9, v30, v41
	s_waitcnt lgkmcnt(0)
	v_fma_f32 v12, -0.5, v12, v19
	v_fma_f32 v13, -0.5, v13, v20
	v_add_f32_e32 v24, v14, v15
	v_mad_u32_u24 v14, v37, s0, 0
	v_lshlrev_b32_sdwa v15, v26, v38 dst_sel:DWORD dst_unused:UNUSED_PAD src0_sel:DWORD src1_sel:BYTE_0
	v_add_f32_e32 v18, v8, v9
	v_add_f32_e32 v8, v19, v36
	;; [unrolled: 1-line block ×3, first 2 shown]
	v_add3_u32 v37, v14, v15, v11
	v_sub_f32_e32 v38, v42, v33
	v_mov_b32_e32 v14, v12
	v_mov_b32_e32 v15, v13
	v_sub_f32_e32 v46, v36, v30
	v_add_f32_e32 v8, v8, v43
	v_add_f32_e32 v9, v9, v23
	v_fmac_f32_e32 v14, 0xbf737871, v38
	v_sub_f32_e32 v45, v23, v29
	v_fmac_f32_e32 v15, 0x3f737871, v46
	v_sub_f32_e32 v47, v43, v41
	v_add_f32_e32 v8, v8, v41
	v_add_f32_e32 v9, v9, v29
	v_fmac_f32_e32 v14, 0xbf167918, v45
	v_fmac_f32_e32 v15, 0x3f167918, v47
	v_add_f32_e32 v8, v8, v30
	v_add_f32_e32 v9, v9, v33
	v_fmac_f32_e32 v14, 0x3e9e377a, v18
	v_fmac_f32_e32 v15, 0x3e9e377a, v24
	v_lshl_add_u32 v17, v7, 3, v0
	ds_read_b64 v[21:22], v17
	s_waitcnt lgkmcnt(0)
	s_barrier
	ds_write2_b64 v37, v[8:9], v[14:15] offset1:10
	v_add_f32_e32 v8, v36, v30
	v_fma_f32 v19, -0.5, v8, v19
	v_sub_f32_e32 v8, v43, v36
	v_sub_f32_e32 v9, v41, v30
	v_add_f32_e32 v9, v8, v9
	v_mov_b32_e32 v8, v19
	v_fmac_f32_e32 v8, 0x3f737871, v45
	v_fmac_f32_e32 v19, 0xbf737871, v45
	;; [unrolled: 1-line block ×6, first 2 shown]
	v_add_f32_e32 v9, v42, v33
	v_fmac_f32_e32 v20, -0.5, v9
	v_sub_f32_e32 v9, v23, v42
	v_sub_f32_e32 v14, v29, v33
	v_add_f32_e32 v14, v9, v14
	v_mov_b32_e32 v9, v20
	v_fmac_f32_e32 v9, 0xbf737871, v47
	v_fmac_f32_e32 v20, 0x3f737871, v47
	;; [unrolled: 1-line block ×6, first 2 shown]
	ds_write2_b64 v37, v[8:9], v[19:20] offset0:20 offset1:30
	v_sub_f32_e32 v8, v28, v44
	v_sub_f32_e32 v9, v32, v34
	v_add_f32_e32 v9, v8, v9
	v_add_f32_e32 v8, v44, v34
	v_fma_f32 v8, -0.5, v8, v21
	v_fmac_f32_e32 v12, 0x3f737871, v38
	v_sub_f32_e32 v15, v25, v35
	v_mov_b32_e32 v14, v8
	v_fmac_f32_e32 v12, 0x3f167918, v45
	v_fmac_f32_e32 v14, 0xbf737871, v15
	v_sub_f32_e32 v19, v27, v31
	v_fmac_f32_e32 v8, 0x3f737871, v15
	v_fmac_f32_e32 v12, 0x3e9e377a, v18
	;; [unrolled: 1-line block ×4, first 2 shown]
	v_add_f32_e32 v18, v28, v32
	v_fmac_f32_e32 v14, 0x3e9e377a, v9
	v_fmac_f32_e32 v8, 0x3e9e377a, v9
	v_add_f32_e32 v9, v21, v28
	v_fma_f32 v21, -0.5, v18, v21
	v_sub_f32_e32 v18, v44, v28
	v_sub_f32_e32 v20, v34, v32
	v_add_f32_e32 v20, v18, v20
	v_mov_b32_e32 v18, v21
	v_fmac_f32_e32 v18, 0x3f737871, v19
	v_fmac_f32_e32 v21, 0xbf737871, v19
	;; [unrolled: 1-line block ×4, first 2 shown]
	v_add_f32_e32 v9, v9, v44
	v_add_f32_e32 v15, v22, v25
	v_fmac_f32_e32 v13, 0xbf737871, v46
	v_add_f32_e32 v9, v9, v34
	v_add_f32_e32 v15, v15, v27
	v_fmac_f32_e32 v13, 0xbf167918, v47
	v_add_f32_e32 v15, v15, v31
	v_add_f32_e32 v23, v9, v32
	;; [unrolled: 1-line block ×3, first 2 shown]
	v_fmac_f32_e32 v13, 0x3e9e377a, v24
	v_add_f32_e32 v24, v15, v35
	v_fma_f32 v9, -0.5, v9, v22
	v_sub_f32_e32 v15, v25, v27
	v_sub_f32_e32 v19, v35, v31
	v_fmac_f32_e32 v18, 0x3e9e377a, v20
	v_fmac_f32_e32 v21, 0x3e9e377a, v20
	v_sub_f32_e32 v20, v28, v32
	v_add_f32_e32 v19, v15, v19
	v_mov_b32_e32 v15, v9
	v_sub_f32_e32 v28, v44, v34
	v_fmac_f32_e32 v15, 0x3f737871, v20
	v_fmac_f32_e32 v9, 0xbf737871, v20
	;; [unrolled: 1-line block ×6, first 2 shown]
	v_add_f32_e32 v19, v25, v35
	v_fmac_f32_e32 v22, -0.5, v19
	v_sub_f32_e32 v19, v27, v25
	v_sub_f32_e32 v25, v31, v35
	v_add_f32_e32 v25, v19, v25
	v_mov_b32_e32 v19, v22
	v_fmac_f32_e32 v19, 0xbf737871, v28
	v_fmac_f32_e32 v22, 0x3f737871, v28
	ds_write_b64 v37, v[12:13] offset:320
	v_mad_u32_u24 v12, v39, s0, 0
	v_lshlrev_b32_sdwa v13, v26, v40 dst_sel:DWORD dst_unused:UNUSED_PAD src0_sel:DWORD src1_sel:BYTE_0
	v_fmac_f32_e32 v19, 0x3f167918, v20
	v_fmac_f32_e32 v22, 0xbf167918, v20
	v_add3_u32 v11, v12, v13, v11
	v_fmac_f32_e32 v19, 0x3e9e377a, v25
	v_fmac_f32_e32 v22, 0x3e9e377a, v25
	ds_write2_b64 v11, v[23:24], v[14:15] offset1:10
	ds_write2_b64 v11, v[18:19], v[21:22] offset0:20 offset1:30
	ds_write_b64 v11, v[8:9] offset:320
	v_lshlrev_b32_e32 v8, 2, v5
	v_mov_b32_e32 v9, 0
	v_lshlrev_b64 v[11:12], 3, v[8:9]
	v_mov_b32_e32 v15, s13
	v_add_co_u32_e64 v30, s[0:1], s12, v11
	v_addc_co_u32_e64 v31, s[0:1], v15, v12, s[0:1]
	v_lshlrev_b32_e32 v8, 2, v7
	s_waitcnt lgkmcnt(0)
	s_barrier
	global_load_dwordx4 v[11:14], v[30:31], off offset:320
	v_lshlrev_b64 v[18:19], 3, v[8:9]
	v_add_co_u32_e64 v32, s[0:1], s12, v18
	v_addc_co_u32_e64 v33, s[0:1], v15, v19, s[0:1]
	global_load_dwordx4 v[18:21], v[32:33], off offset:320
	global_load_dwordx4 v[22:25], v[30:31], off offset:336
	;; [unrolled: 1-line block ×3, first 2 shown]
	ds_read2_b64 v[30:33], v10 offset0:50 offset1:75
	ds_read2_b64 v[34:37], v10 offset0:100 offset1:125
	v_cmp_ne_u32_e64 s[0:1], 0, v5
	s_waitcnt vmcnt(3) lgkmcnt(1)
	v_mul_f32_e32 v8, v12, v31
	v_mul_f32_e32 v12, v12, v30
	v_fmac_f32_e32 v8, v11, v30
	v_fma_f32 v15, v11, v31, -v12
	s_waitcnt lgkmcnt(0)
	v_mul_f32_e32 v30, v14, v35
	v_mul_f32_e32 v11, v14, v34
	v_fmac_f32_e32 v30, v13, v34
	v_fma_f32 v31, v13, v35, -v11
	s_waitcnt vmcnt(2)
	v_mul_f32_e32 v34, v19, v33
	v_mul_f32_e32 v11, v19, v32
	v_fmac_f32_e32 v34, v18, v32
	v_fma_f32 v32, v18, v33, -v11
	ds_read2_b64 v[11:14], v10 offset0:150 offset1:175
	v_mul_f32_e32 v33, v37, v21
	v_mul_f32_e32 v18, v36, v21
	v_fmac_f32_e32 v33, v36, v20
	v_fma_f32 v35, v37, v20, -v18
	ds_read2_b64 v[18:21], v10 offset0:200 offset1:225
	s_waitcnt vmcnt(1) lgkmcnt(1)
	v_mul_f32_e32 v36, v23, v12
	v_fmac_f32_e32 v36, v22, v11
	v_mul_f32_e32 v11, v23, v11
	v_fma_f32 v37, v22, v12, -v11
	s_waitcnt lgkmcnt(0)
	v_mul_f32_e32 v38, v25, v19
	v_mul_f32_e32 v11, v25, v18
	v_fmac_f32_e32 v38, v24, v18
	v_fma_f32 v24, v24, v19, -v11
	s_waitcnt vmcnt(0)
	v_mul_f32_e32 v11, v13, v27
	v_mul_f32_e32 v25, v14, v27
	v_fma_f32 v27, v14, v26, -v11
	v_mul_f32_e32 v11, v20, v29
	v_fma_f32 v40, v21, v28, -v11
	ds_read_b64 v[11:12], v16
	v_mul_f32_e32 v39, v21, v29
	v_fmac_f32_e32 v25, v13, v26
	v_fmac_f32_e32 v39, v20, v28
	v_sub_f32_e32 v13, v8, v30
	v_sub_f32_e32 v14, v38, v36
	v_add_f32_e32 v20, v30, v36
	v_add_f32_e32 v21, v31, v37
	;; [unrolled: 1-line block ×3, first 2 shown]
	ds_read_b64 v[13:14], v17
	s_waitcnt lgkmcnt(1)
	v_fma_f32 v20, -0.5, v20, v11
	v_fma_f32 v21, -0.5, v21, v12
	v_sub_f32_e32 v22, v15, v31
	v_sub_f32_e32 v23, v24, v37
	v_add_f32_e32 v18, v11, v8
	v_add_f32_e32 v19, v12, v15
	;; [unrolled: 1-line block ×3, first 2 shown]
	v_sub_f32_e32 v29, v15, v24
	v_mov_b32_e32 v22, v20
	v_mov_b32_e32 v23, v21
	v_sub_f32_e32 v42, v8, v38
	v_add_f32_e32 v18, v18, v30
	v_add_f32_e32 v19, v19, v31
	v_fmac_f32_e32 v22, 0xbf737871, v29
	v_sub_f32_e32 v41, v31, v37
	v_fmac_f32_e32 v23, 0x3f737871, v42
	v_sub_f32_e32 v43, v30, v36
	v_add_f32_e32 v18, v18, v36
	v_add_f32_e32 v19, v19, v37
	v_fmac_f32_e32 v22, 0xbf167918, v41
	v_fmac_f32_e32 v23, 0x3f167918, v43
	v_add_f32_e32 v18, v18, v38
	v_add_f32_e32 v19, v19, v24
	v_fmac_f32_e32 v22, 0x3e9e377a, v26
	v_fmac_f32_e32 v23, 0x3e9e377a, v28
	s_waitcnt lgkmcnt(0)
	s_barrier
	ds_write2_b64 v10, v[18:19], v[22:23] offset1:50
	v_add_f32_e32 v18, v8, v38
	v_fma_f32 v11, -0.5, v18, v11
	v_sub_f32_e32 v8, v30, v8
	v_sub_f32_e32 v18, v36, v38
	v_add_f32_e32 v8, v8, v18
	v_mov_b32_e32 v18, v11
	v_fmac_f32_e32 v18, 0x3f737871, v41
	v_fmac_f32_e32 v11, 0xbf737871, v41
	;; [unrolled: 1-line block ×6, first 2 shown]
	v_add_f32_e32 v8, v15, v24
	v_fmac_f32_e32 v12, -0.5, v8
	v_mov_b32_e32 v19, v12
	v_sub_f32_e32 v8, v31, v15
	v_sub_f32_e32 v15, v37, v24
	v_fmac_f32_e32 v19, 0xbf737871, v43
	v_fmac_f32_e32 v12, 0x3f737871, v43
	v_add_f32_e32 v8, v8, v15
	v_fmac_f32_e32 v19, 0x3f167918, v42
	v_fmac_f32_e32 v12, 0xbf167918, v42
	;; [unrolled: 1-line block ×4, first 2 shown]
	v_sub_f32_e32 v8, v34, v33
	v_sub_f32_e32 v15, v39, v25
	v_add_f32_e32 v8, v8, v15
	v_add_f32_e32 v15, v33, v25
	v_fma_f32 v22, -0.5, v15, v13
	v_fmac_f32_e32 v20, 0x3f737871, v29
	v_sub_f32_e32 v15, v32, v40
	v_mov_b32_e32 v24, v22
	v_fmac_f32_e32 v20, 0x3f167918, v41
	v_fmac_f32_e32 v21, 0xbf737871, v42
	;; [unrolled: 1-line block ×3, first 2 shown]
	v_sub_f32_e32 v23, v35, v27
	v_fmac_f32_e32 v22, 0x3f737871, v15
	v_fmac_f32_e32 v20, 0x3e9e377a, v26
	;; [unrolled: 1-line block ×5, first 2 shown]
	v_add_f32_e32 v26, v34, v39
	v_fmac_f32_e32 v21, 0x3e9e377a, v28
	v_fmac_f32_e32 v24, 0x3e9e377a, v8
	;; [unrolled: 1-line block ×3, first 2 shown]
	v_add_f32_e32 v8, v13, v34
	v_fma_f32 v13, -0.5, v26, v13
	v_sub_f32_e32 v26, v33, v34
	v_sub_f32_e32 v28, v25, v39
	v_add_f32_e32 v28, v26, v28
	v_mov_b32_e32 v26, v13
	v_fmac_f32_e32 v26, 0x3f737871, v23
	v_fmac_f32_e32 v13, 0xbf737871, v23
	;; [unrolled: 1-line block ×4, first 2 shown]
	v_add_f32_e32 v8, v8, v33
	v_add_f32_e32 v15, v14, v32
	;; [unrolled: 1-line block ×4, first 2 shown]
	v_fmac_f32_e32 v26, 0x3e9e377a, v28
	v_fmac_f32_e32 v13, 0x3e9e377a, v28
	v_add_f32_e32 v15, v15, v27
	v_add_f32_e32 v28, v8, v39
	;; [unrolled: 1-line block ×4, first 2 shown]
	v_fma_f32 v23, -0.5, v8, v14
	v_sub_f32_e32 v15, v33, v25
	v_sub_f32_e32 v25, v32, v35
	;; [unrolled: 1-line block ×4, first 2 shown]
	v_add_f32_e32 v30, v25, v30
	v_mov_b32_e32 v25, v23
	v_fmac_f32_e32 v25, 0x3f737871, v8
	v_fmac_f32_e32 v23, 0xbf737871, v8
	v_fmac_f32_e32 v25, 0x3f167918, v15
	v_fmac_f32_e32 v23, 0xbf167918, v15
	v_fmac_f32_e32 v25, 0x3e9e377a, v30
	v_fmac_f32_e32 v23, 0x3e9e377a, v30
	v_add_f32_e32 v30, v32, v40
	v_fmac_f32_e32 v14, -0.5, v30
	v_sub_f32_e32 v30, v35, v32
	v_sub_f32_e32 v27, v27, v40
	v_add_f32_e32 v30, v30, v27
	v_mov_b32_e32 v27, v14
	v_fmac_f32_e32 v14, 0x3f737871, v15
	v_fmac_f32_e32 v27, 0xbf737871, v15
	v_fmac_f32_e32 v14, 0xbf167918, v8
	v_fmac_f32_e32 v27, 0x3f167918, v8
	v_fmac_f32_e32 v14, 0x3e9e377a, v30
	v_fmac_f32_e32 v27, 0x3e9e377a, v30
	ds_write2_b64 v10, v[18:19], v[11:12] offset0:100 offset1:150
	ds_write_b64 v10, v[20:21] offset:1600
	ds_write2_b64 v17, v[28:29], v[24:25] offset1:50
	ds_write2_b64 v17, v[26:27], v[13:14] offset0:100 offset1:150
	ds_write_b64 v17, v[22:23] offset:1600
	s_waitcnt lgkmcnt(0)
	s_barrier
	ds_read_b64 v[14:15], v16
	v_sub_u32_e32 v18, v0, v6
                                        ; implicit-def: $vgpr10
                                        ; implicit-def: $vgpr19
                                        ; implicit-def: $vgpr20
                                        ; implicit-def: $vgpr12_vgpr13
	s_and_saveexec_b64 s[4:5], s[0:1]
	s_xor_b64 s[4:5], exec, s[4:5]
	s_cbranch_execz .LBB0_14
; %bb.13:
	v_mov_b32_e32 v6, v9
	v_lshlrev_b64 v[8:9], 3, v[5:6]
	v_mov_b32_e32 v10, s13
	v_add_co_u32_e64 v8, s[0:1], s12, v8
	v_addc_co_u32_e64 v9, s[0:1], v10, v9, s[0:1]
	global_load_dwordx2 v[8:9], v[8:9], off offset:1920
	ds_read_b64 v[10:11], v18 offset:2000
	s_waitcnt lgkmcnt(0)
	v_add_f32_e32 v12, v10, v14
	v_sub_f32_e32 v10, v14, v10
	v_add_f32_e32 v13, v11, v15
	v_sub_f32_e32 v11, v15, v11
	v_mul_f32_e32 v10, 0.5, v10
	v_mul_f32_e32 v13, 0.5, v13
	;; [unrolled: 1-line block ×3, first 2 shown]
	s_waitcnt vmcnt(0)
	v_mul_f32_e32 v14, v9, v10
	v_fma_f32 v15, v13, v9, v11
	v_fma_f32 v9, v13, v9, -v11
	v_fma_f32 v19, 0.5, v12, v14
	v_fma_f32 v12, v12, 0.5, -v14
	v_fma_f32 v20, -v8, v10, v15
	v_fma_f32 v11, -v8, v10, v9
	v_fmac_f32_e32 v19, v8, v13
	v_fma_f32 v10, -v8, v13, v12
	v_mov_b32_e32 v13, v6
	v_mov_b32_e32 v12, v5
                                        ; implicit-def: $vgpr14_vgpr15
.LBB0_14:
	s_andn2_saveexec_b64 s[0:1], s[4:5]
	s_cbranch_execz .LBB0_16
; %bb.15:
	ds_read_b32 v6, v0 offset:1004
	v_mov_b32_e32 v12, 0
	s_waitcnt lgkmcnt(1)
	v_add_f32_e32 v19, v14, v15
	v_sub_f32_e32 v10, v14, v15
	v_mov_b32_e32 v13, 0
	v_mov_b32_e32 v20, 0
	s_waitcnt lgkmcnt(0)
	v_xor_b32_e32 v6, 0x80000000, v6
	v_mov_b32_e32 v11, 0
	ds_write_b32 v0, v6 offset:1004
.LBB0_16:
	s_or_b64 exec, exec, s[0:1]
	v_mov_b32_e32 v8, 0
	v_lshlrev_b64 v[6:7], 3, v[7:8]
	v_mov_b32_e32 v9, s13
	v_add_co_u32_e64 v6, s[0:1], s12, v6
	v_addc_co_u32_e64 v7, s[0:1], v9, v7, s[0:1]
	global_load_dwordx2 v[6:7], v[6:7], off offset:1920
	s_add_u32 s0, s12, 0x780
	v_lshlrev_b64 v[12:13], 3, v[12:13]
	s_addc_u32 s1, s13, 0
	v_mov_b32_e32 v9, s1
	v_add_co_u32_e64 v12, s[0:1], s0, v12
	v_addc_co_u32_e64 v13, s[0:1], v9, v13, s[0:1]
	s_waitcnt lgkmcnt(0)
	global_load_dwordx2 v[14:15], v[12:13], off offset:400
	global_load_dwordx2 v[21:22], v[12:13], off offset:600
	ds_write2_b32 v16, v19, v20 offset1:1
	ds_write_b64 v18, v[10:11] offset:2000
	ds_read_b64 v[9:10], v17
	ds_read_b64 v[19:20], v18 offset:1800
	global_load_dwordx2 v[11:12], v[12:13], off offset:800
	s_waitcnt lgkmcnt(0)
	v_add_f32_e32 v13, v9, v19
	v_sub_f32_e32 v9, v9, v19
	v_add_f32_e32 v23, v10, v20
	v_sub_f32_e32 v10, v10, v20
	v_mul_f32_e32 v9, 0.5, v9
	v_mul_f32_e32 v19, 0.5, v23
	v_mul_f32_e32 v10, 0.5, v10
	s_waitcnt vmcnt(3)
	v_mul_f32_e32 v20, v7, v9
	v_fma_f32 v23, v19, v7, v10
	v_fma_f32 v7, v19, v7, -v10
	v_fma_f32 v10, 0.5, v13, v20
	v_fma_f32 v23, -v6, v9, v23
	v_fma_f32 v13, v13, 0.5, -v20
	v_fmac_f32_e32 v10, v6, v19
	v_fma_f32 v7, -v6, v9, v7
	v_fma_f32 v6, -v6, v19, v13
	ds_write2_b32 v17, v10, v23 offset1:1
	ds_write_b64 v18, v[6:7] offset:1800
	ds_read_b64 v[6:7], v16 offset:400
	ds_read_b64 v[9:10], v18 offset:1600
	s_waitcnt lgkmcnt(0)
	v_add_f32_e32 v13, v6, v9
	v_sub_f32_e32 v6, v6, v9
	v_add_f32_e32 v17, v7, v10
	v_sub_f32_e32 v7, v7, v10
	v_mul_f32_e32 v6, 0.5, v6
	v_mul_f32_e32 v9, 0.5, v17
	;; [unrolled: 1-line block ×3, first 2 shown]
	s_waitcnt vmcnt(2)
	v_mul_f32_e32 v10, v15, v6
	v_fma_f32 v17, v9, v15, v7
	v_fma_f32 v7, v9, v15, -v7
	v_fma_f32 v15, 0.5, v13, v10
	v_fma_f32 v17, -v14, v6, v17
	v_fma_f32 v10, v13, 0.5, -v10
	v_fmac_f32_e32 v15, v14, v9
	v_fma_f32 v7, -v14, v6, v7
	v_fma_f32 v6, -v14, v9, v10
	ds_write2_b32 v16, v15, v17 offset0:100 offset1:101
	ds_write_b64 v18, v[6:7] offset:1600
	ds_read_b64 v[6:7], v16 offset:600
	ds_read_b64 v[9:10], v18 offset:1400
	s_waitcnt lgkmcnt(0)
	v_add_f32_e32 v13, v6, v9
	v_sub_f32_e32 v6, v6, v9
	v_add_f32_e32 v14, v7, v10
	v_sub_f32_e32 v7, v7, v10
	v_mul_f32_e32 v6, 0.5, v6
	v_mul_f32_e32 v9, 0.5, v14
	;; [unrolled: 1-line block ×3, first 2 shown]
	s_waitcnt vmcnt(1)
	v_mul_f32_e32 v10, v22, v6
	v_fma_f32 v14, v9, v22, v7
	v_fma_f32 v15, 0.5, v13, v10
	v_fma_f32 v7, v9, v22, -v7
	v_fma_f32 v14, -v21, v6, v14
	v_fma_f32 v10, v13, 0.5, -v10
	v_fmac_f32_e32 v15, v21, v9
	v_fma_f32 v7, -v21, v6, v7
	v_fma_f32 v6, -v21, v9, v10
	ds_write2_b32 v16, v15, v14 offset0:150 offset1:151
	ds_write_b64 v18, v[6:7] offset:1400
	ds_read_b64 v[6:7], v16 offset:800
	ds_read_b64 v[9:10], v18 offset:1200
	s_waitcnt lgkmcnt(0)
	v_add_f32_e32 v13, v6, v9
	v_sub_f32_e32 v6, v6, v9
	v_add_f32_e32 v14, v7, v10
	v_sub_f32_e32 v7, v7, v10
	v_mul_f32_e32 v6, 0.5, v6
	v_mul_f32_e32 v9, 0.5, v14
	;; [unrolled: 1-line block ×3, first 2 shown]
	s_waitcnt vmcnt(0)
	v_mul_f32_e32 v10, v12, v6
	v_fma_f32 v14, v9, v12, v7
	v_fma_f32 v7, v9, v12, -v7
	v_fma_f32 v12, 0.5, v13, v10
	v_fma_f32 v14, -v11, v6, v14
	v_fma_f32 v10, v13, 0.5, -v10
	v_fmac_f32_e32 v12, v11, v9
	v_fma_f32 v7, -v11, v6, v7
	v_fma_f32 v6, -v11, v9, v10
	ds_write2_b32 v16, v12, v14 offset0:200 offset1:201
	ds_write_b64 v18, v[6:7] offset:1200
	s_waitcnt lgkmcnt(0)
	s_barrier
	s_and_saveexec_b64 s[0:1], vcc
	s_cbranch_execz .LBB0_19
; %bb.17:
	v_mul_lo_u32 v6, s3, v3
	v_mul_lo_u32 v4, s2, v4
	v_mad_u64_u32 v[13:14], s[0:1], s2, v3, 0
	v_lshl_add_u32 v3, v5, 3, v0
	v_mov_b32_e32 v0, s11
	v_add3_u32 v14, v14, v4, v6
	v_lshlrev_b64 v[13:14], 3, v[13:14]
	v_mov_b32_e32 v6, v8
	v_add_co_u32_e32 v4, vcc, s10, v13
	v_addc_co_u32_e32 v7, vcc, v0, v14, vcc
	v_lshlrev_b64 v[0:1], 3, v[1:2]
	ds_read2_b64 v[9:12], v3 offset1:25
	v_add_co_u32_e32 v0, vcc, v4, v0
	v_addc_co_u32_e32 v1, vcc, v7, v1, vcc
	v_lshlrev_b64 v[6:7], 3, v[5:6]
	v_add_co_u32_e32 v6, vcc, v0, v6
	v_addc_co_u32_e32 v7, vcc, v1, v7, vcc
	s_waitcnt lgkmcnt(0)
	global_store_dwordx2 v[6:7], v[9:10], off
	v_add_u32_e32 v7, 25, v5
	v_lshlrev_b64 v[6:7], 3, v[7:8]
	v_add_co_u32_e32 v6, vcc, v0, v6
	v_addc_co_u32_e32 v7, vcc, v1, v7, vcc
	global_store_dwordx2 v[6:7], v[11:12], off
	v_add_u32_e32 v7, 50, v5
	ds_read2_b64 v[9:12], v3 offset0:50 offset1:75
	v_lshlrev_b64 v[6:7], 3, v[7:8]
	v_add_co_u32_e32 v6, vcc, v0, v6
	v_addc_co_u32_e32 v7, vcc, v1, v7, vcc
	s_waitcnt lgkmcnt(0)
	global_store_dwordx2 v[6:7], v[9:10], off
	v_add_u32_e32 v7, 0x4b, v5
	v_lshlrev_b64 v[6:7], 3, v[7:8]
	v_add_co_u32_e32 v6, vcc, v0, v6
	v_addc_co_u32_e32 v7, vcc, v1, v7, vcc
	global_store_dwordx2 v[6:7], v[11:12], off
	v_add_u32_e32 v7, 0x64, v5
	ds_read2_b64 v[9:12], v3 offset0:100 offset1:125
	;; [unrolled: 12-line block ×4, first 2 shown]
	v_lshlrev_b64 v[6:7], 3, v[7:8]
	v_add_co_u32_e32 v6, vcc, v0, v6
	v_addc_co_u32_e32 v7, vcc, v1, v7, vcc
	s_waitcnt lgkmcnt(0)
	global_store_dwordx2 v[6:7], v[9:10], off
	v_add_u32_e32 v7, 0xe1, v5
	v_lshlrev_b64 v[6:7], 3, v[7:8]
	v_add_co_u32_e32 v6, vcc, v0, v6
	v_addc_co_u32_e32 v7, vcc, v1, v7, vcc
	v_cmp_eq_u32_e32 vcc, 24, v5
	global_store_dwordx2 v[6:7], v[11:12], off
	s_and_b64 exec, exec, vcc
	s_cbranch_execz .LBB0_19
; %bb.18:
	ds_read_b64 v[2:3], v3 offset:1808
	s_waitcnt lgkmcnt(0)
	global_store_dwordx2 v[0:1], v[2:3], off offset:2000
.LBB0_19:
	s_endpgm
	.section	.rodata,"a",@progbits
	.p2align	6, 0x0
	.amdhsa_kernel fft_rtc_back_len250_factors_10_5_5_wgs_125_tpt_25_halfLds_sp_op_CI_CI_unitstride_sbrr_R2C_dirReg
		.amdhsa_group_segment_fixed_size 0
		.amdhsa_private_segment_fixed_size 0
		.amdhsa_kernarg_size 104
		.amdhsa_user_sgpr_count 6
		.amdhsa_user_sgpr_private_segment_buffer 1
		.amdhsa_user_sgpr_dispatch_ptr 0
		.amdhsa_user_sgpr_queue_ptr 0
		.amdhsa_user_sgpr_kernarg_segment_ptr 1
		.amdhsa_user_sgpr_dispatch_id 0
		.amdhsa_user_sgpr_flat_scratch_init 0
		.amdhsa_user_sgpr_private_segment_size 0
		.amdhsa_uses_dynamic_stack 0
		.amdhsa_system_sgpr_private_segment_wavefront_offset 0
		.amdhsa_system_sgpr_workgroup_id_x 1
		.amdhsa_system_sgpr_workgroup_id_y 0
		.amdhsa_system_sgpr_workgroup_id_z 0
		.amdhsa_system_sgpr_workgroup_info 0
		.amdhsa_system_vgpr_workitem_id 0
		.amdhsa_next_free_vgpr 54
		.amdhsa_next_free_sgpr 28
		.amdhsa_reserve_vcc 1
		.amdhsa_reserve_flat_scratch 0
		.amdhsa_float_round_mode_32 0
		.amdhsa_float_round_mode_16_64 0
		.amdhsa_float_denorm_mode_32 3
		.amdhsa_float_denorm_mode_16_64 3
		.amdhsa_dx10_clamp 1
		.amdhsa_ieee_mode 1
		.amdhsa_fp16_overflow 0
		.amdhsa_exception_fp_ieee_invalid_op 0
		.amdhsa_exception_fp_denorm_src 0
		.amdhsa_exception_fp_ieee_div_zero 0
		.amdhsa_exception_fp_ieee_overflow 0
		.amdhsa_exception_fp_ieee_underflow 0
		.amdhsa_exception_fp_ieee_inexact 0
		.amdhsa_exception_int_div_zero 0
	.end_amdhsa_kernel
	.text
.Lfunc_end0:
	.size	fft_rtc_back_len250_factors_10_5_5_wgs_125_tpt_25_halfLds_sp_op_CI_CI_unitstride_sbrr_R2C_dirReg, .Lfunc_end0-fft_rtc_back_len250_factors_10_5_5_wgs_125_tpt_25_halfLds_sp_op_CI_CI_unitstride_sbrr_R2C_dirReg
                                        ; -- End function
	.section	.AMDGPU.csdata,"",@progbits
; Kernel info:
; codeLenInByte = 6264
; NumSgprs: 32
; NumVgprs: 54
; ScratchSize: 0
; MemoryBound: 0
; FloatMode: 240
; IeeeMode: 1
; LDSByteSize: 0 bytes/workgroup (compile time only)
; SGPRBlocks: 3
; VGPRBlocks: 13
; NumSGPRsForWavesPerEU: 32
; NumVGPRsForWavesPerEU: 54
; Occupancy: 4
; WaveLimiterHint : 1
; COMPUTE_PGM_RSRC2:SCRATCH_EN: 0
; COMPUTE_PGM_RSRC2:USER_SGPR: 6
; COMPUTE_PGM_RSRC2:TRAP_HANDLER: 0
; COMPUTE_PGM_RSRC2:TGID_X_EN: 1
; COMPUTE_PGM_RSRC2:TGID_Y_EN: 0
; COMPUTE_PGM_RSRC2:TGID_Z_EN: 0
; COMPUTE_PGM_RSRC2:TIDIG_COMP_CNT: 0
	.type	__hip_cuid_9a1b91e2eb1283e5,@object ; @__hip_cuid_9a1b91e2eb1283e5
	.section	.bss,"aw",@nobits
	.globl	__hip_cuid_9a1b91e2eb1283e5
__hip_cuid_9a1b91e2eb1283e5:
	.byte	0                               ; 0x0
	.size	__hip_cuid_9a1b91e2eb1283e5, 1

	.ident	"AMD clang version 19.0.0git (https://github.com/RadeonOpenCompute/llvm-project roc-6.4.0 25133 c7fe45cf4b819c5991fe208aaa96edf142730f1d)"
	.section	".note.GNU-stack","",@progbits
	.addrsig
	.addrsig_sym __hip_cuid_9a1b91e2eb1283e5
	.amdgpu_metadata
---
amdhsa.kernels:
  - .args:
      - .actual_access:  read_only
        .address_space:  global
        .offset:         0
        .size:           8
        .value_kind:     global_buffer
      - .offset:         8
        .size:           8
        .value_kind:     by_value
      - .actual_access:  read_only
        .address_space:  global
        .offset:         16
        .size:           8
        .value_kind:     global_buffer
      - .actual_access:  read_only
        .address_space:  global
        .offset:         24
        .size:           8
        .value_kind:     global_buffer
      - .actual_access:  read_only
        .address_space:  global
        .offset:         32
        .size:           8
        .value_kind:     global_buffer
      - .offset:         40
        .size:           8
        .value_kind:     by_value
      - .actual_access:  read_only
        .address_space:  global
        .offset:         48
        .size:           8
        .value_kind:     global_buffer
      - .actual_access:  read_only
        .address_space:  global
        .offset:         56
        .size:           8
        .value_kind:     global_buffer
      - .offset:         64
        .size:           4
        .value_kind:     by_value
      - .actual_access:  read_only
        .address_space:  global
        .offset:         72
        .size:           8
        .value_kind:     global_buffer
      - .actual_access:  read_only
        .address_space:  global
        .offset:         80
        .size:           8
        .value_kind:     global_buffer
      - .actual_access:  read_only
        .address_space:  global
        .offset:         88
        .size:           8
        .value_kind:     global_buffer
      - .actual_access:  write_only
        .address_space:  global
        .offset:         96
        .size:           8
        .value_kind:     global_buffer
    .group_segment_fixed_size: 0
    .kernarg_segment_align: 8
    .kernarg_segment_size: 104
    .language:       OpenCL C
    .language_version:
      - 2
      - 0
    .max_flat_workgroup_size: 125
    .name:           fft_rtc_back_len250_factors_10_5_5_wgs_125_tpt_25_halfLds_sp_op_CI_CI_unitstride_sbrr_R2C_dirReg
    .private_segment_fixed_size: 0
    .sgpr_count:     32
    .sgpr_spill_count: 0
    .symbol:         fft_rtc_back_len250_factors_10_5_5_wgs_125_tpt_25_halfLds_sp_op_CI_CI_unitstride_sbrr_R2C_dirReg.kd
    .uniform_work_group_size: 1
    .uses_dynamic_stack: false
    .vgpr_count:     54
    .vgpr_spill_count: 0
    .wavefront_size: 64
amdhsa.target:   amdgcn-amd-amdhsa--gfx906
amdhsa.version:
  - 1
  - 2
...

	.end_amdgpu_metadata
